;; amdgpu-corpus repo=linkedin/Liger-Kernel kind=triton arch=gfx950 opt=O3 lang=triton
	.amdgcn_target "amdgcn-amd-amdhsa--gfx950"
	.amdhsa_code_object_version 5
	.text
	.globl	_kldiv_kernel_forward           ; -- Begin function _kldiv_kernel_forward
	.p2align	8
	.type	_kldiv_kernel_forward,@function
_kldiv_kernel_forward:                  ; @_kldiv_kernel_forward
.Lfunc_begin0:
	.cfi_sections .debug_frame
	.cfi_startproc
; %bb.100:
	.file	1 "/root/src/amdgpu-assembly/repos/linkedin__Liger-Kernel/triton_aot_kernels" "kl_div_aot.py"
	.loc	1 12 0 prologue_end             ; kl_div_aot.py:12:0
	s_load_dwordx2 s[2:3], s[0:1], 0x0
	s_load_dwordx8 s[4:11], s[0:1], 0x8
	s_load_dwordx2 s[12:13], s[0:1], 0x28
	s_load_dword s14, s[0:1], 0x30
	s_waitcnt lgkmcnt(0)
	s_branch .LBB0_0
	.loc	1 0 0 is_stmt 0                 ; :0:0
.Ltmp0:
	.p2align	8
; %bb.101:
.LBB0_0:
.Ltmp1:
	.loc	1 33 30 is_stmt 1               ; kl_div_aot.py:33:30
	s_cmp_lt_i32 s13, 1
	.loc	1 30 32                         ; kl_div_aot.py:30:32
	v_readfirstlane_b32 s0, v0
	.loc	1 33 30                         ; kl_div_aot.py:33:30
	s_cbranch_scc1 .LBB0_99
; %bb.1:                                ; %.lr.ph.preheader
	.loc	1 47 41                         ; kl_div_aot.py:47:41
	s_and_b32 s5, s0, 0xc0
	.loc	1 26 19                         ; kl_div_aot.py:26:19
	s_mul_hi_i32 s1, s4, s15
	s_mul_i32 s0, s4, s15
	.loc	1 26 13 is_stmt 0               ; kl_div_aot.py:26:13
	s_lshl_b64 s[0:1], s[0:1], 2
	s_add_u32 s34, s2, s0
	s_addc_u32 s35, s3, s1
	.loc	1 27 20 is_stmt 1               ; kl_div_aot.py:27:20
	s_mul_hi_i32 s1, s8, s15
	s_mul_i32 s0, s8, s15
	.loc	1 27 14 is_stmt 0               ; kl_div_aot.py:27:14
	s_lshl_b64 s[0:1], s[0:1], 2
	s_add_u32 s36, s6, s0
	s_addc_u32 s37, s7, s1
	.loc	1 28 22 is_stmt 1               ; kl_div_aot.py:28:22
	;; [unrolled: 7-line block ×3, first 2 shown]
	v_and_or_b32 v28, v0, 63, s5
	s_mov_b32 s12, 0
	s_mov_b32 s33, 0xc2fc0000
	v_not_b32_e32 v29, 63
	v_mov_b32_e32 v30, 0x42800000
	s_branch .LBB0_3
.LBB0_2:                                ;   in Loop: Header=BB0_3 Depth=1
	.loc	1 0 20 is_stmt 0                ; kl_div_aot.py:0:20
	s_or_b64 exec, exec, s[0:1]
	.loc	1 33 30 is_stmt 1               ; kl_div_aot.py:33:30
	s_addk_i32 s12, 0x1000
	s_cmp_lt_i32 s12, s13
	s_cbranch_scc0 .LBB0_99
.LBB0_3:                                ; %.lr.ph
                                        ; =>This Inner Loop Header: Depth=1
	.loc	1 34 22                         ; kl_div_aot.py:34:22
	v_add_u32_e32 v24, s12, v28
	.loc	1 36 28                         ; kl_div_aot.py:36:28
	v_ashrrev_i32_e32 v25, 31, v24
	.loc	1 36 20 is_stmt 0               ; kl_div_aot.py:36:20
	s_waitcnt vmcnt(0)
	v_mov_b32_e32 v40, 0
	.loc	1 35 25 is_stmt 1               ; kl_div_aot.py:35:25
	v_cmp_gt_i32_e64 s[26:27], s13, v24
	.loc	1 36 28                         ; kl_div_aot.py:36:28
	v_lshl_add_u64 v[0:1], v[24:25], 2, s[34:35]
	v_mov_b32_e32 v46, v40
	.loc	1 36 20 is_stmt 0               ; kl_div_aot.py:36:20
	s_and_saveexec_b64 s[0:1], s[26:27]
	s_cbranch_execz .LBB0_5
; %bb.4:                                ;   in Loop: Header=BB0_3 Depth=1
	global_load_dword v46, v[0:1], off
.LBB0_5:                                ;   in Loop: Header=BB0_3 Depth=1
	.loc	1 0 20                          ; kl_div_aot.py:0:20
	s_or_b64 exec, exec, s[0:1]
	.loc	1 34 22 is_stmt 1               ; kl_div_aot.py:34:22
	v_add_u32_e32 v2, 0x100, v24
	.loc	1 35 25                         ; kl_div_aot.py:35:25
	v_cmp_gt_i32_e64 s[28:29], s13, v2
	.loc	1 36 20                         ; kl_div_aot.py:36:20
	s_and_saveexec_b64 s[0:1], s[28:29]
	s_cbranch_execz .LBB0_7
; %bb.6:                                ;   in Loop: Header=BB0_3 Depth=1
	global_load_dword v40, v[0:1], off offset:1024
.LBB0_7:                                ;   in Loop: Header=BB0_3 Depth=1
	.loc	1 0 20 is_stmt 0                ; kl_div_aot.py:0:20
	s_or_b64 exec, exec, s[0:1]
	.loc	1 34 22 is_stmt 1               ; kl_div_aot.py:34:22
	v_add_u32_e32 v2, 0x200, v24
	.loc	1 36 20                         ; kl_div_aot.py:36:20
	v_mov_b32_e32 v37, 0
	.loc	1 35 25                         ; kl_div_aot.py:35:25
	v_cmp_gt_i32_e64 s[24:25], s13, v2
	v_mov_b32_e32 v45, v37
	.loc	1 36 20                         ; kl_div_aot.py:36:20
	s_and_saveexec_b64 s[0:1], s[24:25]
	s_cbranch_execz .LBB0_9
; %bb.8:                                ;   in Loop: Header=BB0_3 Depth=1
	global_load_dword v45, v[0:1], off offset:2048
.LBB0_9:                                ;   in Loop: Header=BB0_3 Depth=1
	.loc	1 0 20 is_stmt 0                ; kl_div_aot.py:0:20
	s_or_b64 exec, exec, s[0:1]
	.loc	1 34 22 is_stmt 1               ; kl_div_aot.py:34:22
	v_add_u32_e32 v2, 0x300, v24
	.loc	1 35 25                         ; kl_div_aot.py:35:25
	v_cmp_gt_i32_e64 s[22:23], s13, v2
	.loc	1 36 20                         ; kl_div_aot.py:36:20
	s_and_saveexec_b64 s[0:1], s[22:23]
	s_cbranch_execz .LBB0_11
; %bb.10:                               ;   in Loop: Header=BB0_3 Depth=1
	global_load_dword v37, v[0:1], off offset:3072
.LBB0_11:                               ;   in Loop: Header=BB0_3 Depth=1
	.loc	1 0 20 is_stmt 0                ; kl_div_aot.py:0:20
	s_or_b64 exec, exec, s[0:1]
	.loc	1 34 22 is_stmt 1               ; kl_div_aot.py:34:22
	v_add_u32_e32 v22, 0x400, v24
	.loc	1 36 20                         ; kl_div_aot.py:36:20
	v_mov_b32_e32 v36, 0
	.loc	1 35 25                         ; kl_div_aot.py:35:25
	v_cmp_gt_i32_e64 s[20:21], s13, v22
	.loc	1 36 28                         ; kl_div_aot.py:36:28
	v_ashrrev_i32_e32 v23, 31, v22
	v_mov_b32_e32 v44, v36
	.loc	1 36 20 is_stmt 0               ; kl_div_aot.py:36:20
	s_and_saveexec_b64 s[0:1], s[20:21]
	s_cbranch_execz .LBB0_13
; %bb.12:                               ;   in Loop: Header=BB0_3 Depth=1
	.loc	1 36 28                         ; kl_div_aot.py:36:28
	v_lshl_add_u64 v[0:1], v[22:23], 2, s[34:35]
	.loc	1 36 20                         ; kl_div_aot.py:36:20
	global_load_dword v44, v[0:1], off
.LBB0_13:                               ;   in Loop: Header=BB0_3 Depth=1
	.loc	1 0 20                          ; kl_div_aot.py:0:20
	s_or_b64 exec, exec, s[0:1]
	.loc	1 34 22 is_stmt 1               ; kl_div_aot.py:34:22
	v_add_u32_e32 v20, 0x500, v24
	.loc	1 35 25                         ; kl_div_aot.py:35:25
	v_cmp_gt_i32_e64 s[18:19], s13, v20
	.loc	1 36 28                         ; kl_div_aot.py:36:28
	v_ashrrev_i32_e32 v21, 31, v20
	.loc	1 36 20 is_stmt 0               ; kl_div_aot.py:36:20
	s_and_saveexec_b64 s[0:1], s[18:19]
	s_cbranch_execz .LBB0_15
; %bb.14:                               ;   in Loop: Header=BB0_3 Depth=1
	.loc	1 36 28                         ; kl_div_aot.py:36:28
	v_lshl_add_u64 v[0:1], v[20:21], 2, s[34:35]
	.loc	1 36 20                         ; kl_div_aot.py:36:20
	global_load_dword v36, v[0:1], off
.LBB0_15:                               ;   in Loop: Header=BB0_3 Depth=1
	.loc	1 0 20                          ; kl_div_aot.py:0:20
	s_or_b64 exec, exec, s[0:1]
	.loc	1 34 22 is_stmt 1               ; kl_div_aot.py:34:22
	v_add_u32_e32 v18, 0x600, v24
	.loc	1 36 20                         ; kl_div_aot.py:36:20
	v_mov_b32_e32 v35, 0
	.loc	1 35 25                         ; kl_div_aot.py:35:25
	v_cmp_gt_i32_e64 s[16:17], s13, v18
	.loc	1 36 28                         ; kl_div_aot.py:36:28
	v_ashrrev_i32_e32 v19, 31, v18
	v_mov_b32_e32 v43, v35
	.loc	1 36 20 is_stmt 0               ; kl_div_aot.py:36:20
	s_and_saveexec_b64 s[0:1], s[16:17]
	s_cbranch_execz .LBB0_17
; %bb.16:                               ;   in Loop: Header=BB0_3 Depth=1
	.loc	1 36 28                         ; kl_div_aot.py:36:28
	v_lshl_add_u64 v[0:1], v[18:19], 2, s[34:35]
	.loc	1 36 20                         ; kl_div_aot.py:36:20
	global_load_dword v43, v[0:1], off
.LBB0_17:                               ;   in Loop: Header=BB0_3 Depth=1
	.loc	1 0 20                          ; kl_div_aot.py:0:20
	s_or_b64 exec, exec, s[0:1]
	.loc	1 34 22 is_stmt 1               ; kl_div_aot.py:34:22
	v_add_u32_e32 v16, 0x700, v24
	.loc	1 35 25                         ; kl_div_aot.py:35:25
	v_cmp_gt_i32_e64 s[14:15], s13, v16
	.loc	1 36 28                         ; kl_div_aot.py:36:28
	v_ashrrev_i32_e32 v17, 31, v16
	.loc	1 36 20 is_stmt 0               ; kl_div_aot.py:36:20
	s_and_saveexec_b64 s[0:1], s[14:15]
	s_cbranch_execz .LBB0_19
; %bb.18:                               ;   in Loop: Header=BB0_3 Depth=1
	.loc	1 36 28                         ; kl_div_aot.py:36:28
	v_lshl_add_u64 v[0:1], v[16:17], 2, s[34:35]
	.loc	1 36 20                         ; kl_div_aot.py:36:20
	global_load_dword v35, v[0:1], off
.LBB0_19:                               ;   in Loop: Header=BB0_3 Depth=1
	.loc	1 0 20                          ; kl_div_aot.py:0:20
	;; [unrolled: 37-line block ×5, first 2 shown]
	s_or_b64 exec, exec, s[0:1]
	.loc	1 34 22 is_stmt 1               ; kl_div_aot.py:34:22
	v_add_u32_e32 v2, 0xe00, v24
	.loc	1 36 20                         ; kl_div_aot.py:36:20
	v_mov_b32_e32 v31, 0
	.loc	1 35 25                         ; kl_div_aot.py:35:25
	v_cmp_gt_i32_e64 s[0:1], s13, v2
	.loc	1 36 28                         ; kl_div_aot.py:36:28
	v_ashrrev_i32_e32 v3, 31, v2
	v_mov_b32_e32 v38, v31
	.loc	1 36 20 is_stmt 0               ; kl_div_aot.py:36:20
	s_and_saveexec_b64 s[40:41], s[0:1]
	s_cbranch_execz .LBB0_33
; %bb.32:                               ;   in Loop: Header=BB0_3 Depth=1
	.loc	1 36 28                         ; kl_div_aot.py:36:28
	v_lshl_add_u64 v[0:1], v[2:3], 2, s[34:35]
	.loc	1 36 20                         ; kl_div_aot.py:36:20
	global_load_dword v38, v[0:1], off
.LBB0_33:                               ;   in Loop: Header=BB0_3 Depth=1
	.loc	1 0 20                          ; kl_div_aot.py:0:20
	s_or_b64 exec, exec, s[40:41]
	.loc	1 35 25 is_stmt 1               ; kl_div_aot.py:35:25
	v_add_u32_e32 v0, 0xf00, v24
	v_cmp_gt_i32_e32 vcc, s13, v0
	.loc	1 36 28                         ; kl_div_aot.py:36:28
	v_ashrrev_i32_e32 v1, 31, v0
	.loc	1 36 20 is_stmt 0               ; kl_div_aot.py:36:20
	s_and_saveexec_b64 s[40:41], vcc
	s_cbranch_execz .LBB0_35
; %bb.34:                               ;   in Loop: Header=BB0_3 Depth=1
	.loc	1 36 28                         ; kl_div_aot.py:36:28
	v_lshl_add_u64 v[26:27], v[0:1], 2, s[34:35]
	.loc	1 36 20                         ; kl_div_aot.py:36:20
	global_load_dword v31, v[26:27], off
.LBB0_35:                               ;   in Loop: Header=BB0_3 Depth=1
	.loc	1 0 20                          ; kl_div_aot.py:0:20
	s_or_b64 exec, exec, s[40:41]
	.loc	1 37 25 is_stmt 1               ; kl_div_aot.py:37:25
	v_mov_b32_e32 v58, 0
	.loc	1 37 34 is_stmt 0               ; kl_div_aot.py:37:34
	v_lshl_add_u64 v[26:27], v[24:25], 2, s[36:37]
	v_mov_b32_e32 v60, v58
	.loc	1 37 25                         ; kl_div_aot.py:37:25
	s_and_saveexec_b64 s[40:41], s[26:27]
	s_cbranch_execz .LBB0_37
; %bb.36:                               ;   in Loop: Header=BB0_3 Depth=1
	global_load_dword v60, v[26:27], off
.LBB0_37:                               ;   in Loop: Header=BB0_3 Depth=1
	.loc	1 0 25                          ; kl_div_aot.py:0:25
	s_or_b64 exec, exec, s[40:41]
	.loc	1 37 25                         ; kl_div_aot.py:37:25
	s_and_saveexec_b64 s[40:41], s[28:29]
	s_cbranch_execz .LBB0_39
; %bb.38:                               ;   in Loop: Header=BB0_3 Depth=1
	global_load_dword v58, v[26:27], off offset:1024
.LBB0_39:                               ;   in Loop: Header=BB0_3 Depth=1
	.loc	1 0 25                          ; kl_div_aot.py:0:25
	s_or_b64 exec, exec, s[40:41]
	.loc	1 37 25                         ; kl_div_aot.py:37:25
	v_mov_b32_e32 v56, 0
	v_mov_b32_e32 v59, v56
	s_and_saveexec_b64 s[40:41], s[24:25]
	s_cbranch_execz .LBB0_41
; %bb.40:                               ;   in Loop: Header=BB0_3 Depth=1
	global_load_dword v59, v[26:27], off offset:2048
.LBB0_41:                               ;   in Loop: Header=BB0_3 Depth=1
	.loc	1 0 25                          ; kl_div_aot.py:0:25
	s_or_b64 exec, exec, s[40:41]
	.loc	1 37 25                         ; kl_div_aot.py:37:25
	s_and_saveexec_b64 s[40:41], s[22:23]
	s_cbranch_execz .LBB0_43
; %bb.42:                               ;   in Loop: Header=BB0_3 Depth=1
	global_load_dword v56, v[26:27], off offset:3072
.LBB0_43:                               ;   in Loop: Header=BB0_3 Depth=1
	.loc	1 0 25                          ; kl_div_aot.py:0:25
	s_or_b64 exec, exec, s[40:41]
	.loc	1 37 25                         ; kl_div_aot.py:37:25
	v_mov_b32_e32 v54, 0
	v_mov_b32_e32 v57, v54
	s_and_saveexec_b64 s[40:41], s[20:21]
	s_cbranch_execz .LBB0_45
; %bb.44:                               ;   in Loop: Header=BB0_3 Depth=1
	.loc	1 37 34                         ; kl_div_aot.py:37:34
	v_lshl_add_u64 v[26:27], v[22:23], 2, s[36:37]
	.loc	1 37 25                         ; kl_div_aot.py:37:25
	global_load_dword v57, v[26:27], off
.LBB0_45:                               ;   in Loop: Header=BB0_3 Depth=1
	.loc	1 0 25                          ; kl_div_aot.py:0:25
	s_or_b64 exec, exec, s[40:41]
	.loc	1 37 25                         ; kl_div_aot.py:37:25
	s_and_saveexec_b64 s[40:41], s[18:19]
	s_cbranch_execz .LBB0_47
; %bb.46:                               ;   in Loop: Header=BB0_3 Depth=1
	.loc	1 37 34                         ; kl_div_aot.py:37:34
	v_lshl_add_u64 v[26:27], v[20:21], 2, s[36:37]
	.loc	1 37 25                         ; kl_div_aot.py:37:25
	global_load_dword v54, v[26:27], off
.LBB0_47:                               ;   in Loop: Header=BB0_3 Depth=1
	.loc	1 0 25                          ; kl_div_aot.py:0:25
	s_or_b64 exec, exec, s[40:41]
	.loc	1 37 25                         ; kl_div_aot.py:37:25
	v_mov_b32_e32 v52, 0
	v_mov_b32_e32 v55, v52
	s_and_saveexec_b64 s[40:41], s[16:17]
	s_cbranch_execz .LBB0_49
; %bb.48:                               ;   in Loop: Header=BB0_3 Depth=1
	.loc	1 37 34                         ; kl_div_aot.py:37:34
	v_lshl_add_u64 v[26:27], v[18:19], 2, s[36:37]
	.loc	1 37 25                         ; kl_div_aot.py:37:25
	global_load_dword v55, v[26:27], off
.LBB0_49:                               ;   in Loop: Header=BB0_3 Depth=1
	.loc	1 0 25                          ; kl_div_aot.py:0:25
	s_or_b64 exec, exec, s[40:41]
	.loc	1 37 25                         ; kl_div_aot.py:37:25
	s_and_saveexec_b64 s[40:41], s[14:15]
	s_cbranch_execz .LBB0_51
; %bb.50:                               ;   in Loop: Header=BB0_3 Depth=1
	.loc	1 37 34                         ; kl_div_aot.py:37:34
	v_lshl_add_u64 v[26:27], v[16:17], 2, s[36:37]
	.loc	1 37 25                         ; kl_div_aot.py:37:25
	global_load_dword v52, v[26:27], off
.LBB0_51:                               ;   in Loop: Header=BB0_3 Depth=1
	;; [unrolled: 24-line block ×5, first 2 shown]
	.loc	1 0 25                          ; kl_div_aot.py:0:25
	s_or_b64 exec, exec, s[40:41]
	.loc	1 37 25                         ; kl_div_aot.py:37:25
	v_mov_b32_e32 v26, 0
	v_mov_b32_e32 v47, v26
	s_and_saveexec_b64 s[40:41], s[0:1]
	s_cbranch_execnz .LBB0_81
; %bb.64:                               ;   in Loop: Header=BB0_3 Depth=1
	.loc	1 0 25                          ; kl_div_aot.py:0:25
	s_or_b64 exec, exec, s[40:41]
	.loc	1 37 25                         ; kl_div_aot.py:37:25
	s_and_saveexec_b64 s[40:41], vcc
	s_cbranch_execnz .LBB0_82
.LBB0_65:                               ;   in Loop: Header=BB0_3 Depth=1
	.loc	1 0 25                          ; kl_div_aot.py:0:25
	s_or_b64 exec, exec, s[40:41]
	.loc	1 47 32 is_stmt 1               ; kl_div_aot.py:47:32
	v_lshl_add_u64 v[24:25], v[24:25], 2, s[38:39]
	.loc	1 47 41 is_stmt 0               ; kl_div_aot.py:47:41
	s_and_saveexec_b64 s[40:41], s[26:27]
	s_cbranch_execnz .LBB0_83
.LBB0_66:                               ;   in Loop: Header=BB0_3 Depth=1
	.loc	1 0 41                          ; kl_div_aot.py:0:41
	s_or_b64 exec, exec, s[40:41]
	.loc	1 47 41                         ; kl_div_aot.py:47:41
	s_and_saveexec_b64 s[40:41], s[28:29]
	s_cbranch_execnz .LBB0_84
.LBB0_67:                               ;   in Loop: Header=BB0_3 Depth=1
	.loc	1 0 41                          ; kl_div_aot.py:0:41
	s_or_b64 exec, exec, s[40:41]
	.loc	1 47 41                         ; kl_div_aot.py:47:41
	s_and_saveexec_b64 s[26:27], s[24:25]
	s_cbranch_execnz .LBB0_85
.LBB0_68:                               ;   in Loop: Header=BB0_3 Depth=1
	.loc	1 0 41                          ; kl_div_aot.py:0:41
	s_or_b64 exec, exec, s[26:27]
	.loc	1 47 41                         ; kl_div_aot.py:47:41
	s_and_saveexec_b64 s[24:25], s[22:23]
	s_cbranch_execnz .LBB0_86
.LBB0_69:                               ;   in Loop: Header=BB0_3 Depth=1
	.loc	1 0 41                          ; kl_div_aot.py:0:41
	s_or_b64 exec, exec, s[24:25]
	.loc	1 47 41                         ; kl_div_aot.py:47:41
	s_and_saveexec_b64 s[22:23], s[20:21]
	s_cbranch_execnz .LBB0_87
.LBB0_70:                               ;   in Loop: Header=BB0_3 Depth=1
	.loc	1 0 41                          ; kl_div_aot.py:0:41
	s_or_b64 exec, exec, s[22:23]
	.loc	1 47 41                         ; kl_div_aot.py:47:41
	s_and_saveexec_b64 s[20:21], s[18:19]
	s_cbranch_execnz .LBB0_88
.LBB0_71:                               ;   in Loop: Header=BB0_3 Depth=1
	.loc	1 0 41                          ; kl_div_aot.py:0:41
	s_or_b64 exec, exec, s[20:21]
	.loc	1 47 41                         ; kl_div_aot.py:47:41
	s_and_saveexec_b64 s[18:19], s[16:17]
	s_cbranch_execnz .LBB0_89
.LBB0_72:                               ;   in Loop: Header=BB0_3 Depth=1
	.loc	1 0 41                          ; kl_div_aot.py:0:41
	s_or_b64 exec, exec, s[18:19]
	.loc	1 47 41                         ; kl_div_aot.py:47:41
	s_and_saveexec_b64 s[16:17], s[14:15]
	s_cbranch_execnz .LBB0_90
.LBB0_73:                               ;   in Loop: Header=BB0_3 Depth=1
	.loc	1 0 41                          ; kl_div_aot.py:0:41
	s_or_b64 exec, exec, s[16:17]
	.loc	1 47 41                         ; kl_div_aot.py:47:41
	s_and_saveexec_b64 s[16:17], s[30:31]
	s_cbranch_execnz .LBB0_91
.LBB0_74:                               ;   in Loop: Header=BB0_3 Depth=1
	.loc	1 0 41                          ; kl_div_aot.py:0:41
	s_or_b64 exec, exec, s[16:17]
	.loc	1 47 41                         ; kl_div_aot.py:47:41
	s_and_saveexec_b64 s[14:15], s[10:11]
	s_cbranch_execnz .LBB0_92
.LBB0_75:                               ;   in Loop: Header=BB0_3 Depth=1
	.loc	1 0 41                          ; kl_div_aot.py:0:41
	s_or_b64 exec, exec, s[14:15]
	.loc	1 47 41                         ; kl_div_aot.py:47:41
	s_and_saveexec_b64 s[10:11], s[8:9]
	s_cbranch_execnz .LBB0_93
.LBB0_76:                               ;   in Loop: Header=BB0_3 Depth=1
	.loc	1 0 41                          ; kl_div_aot.py:0:41
	s_or_b64 exec, exec, s[10:11]
	.loc	1 47 41                         ; kl_div_aot.py:47:41
	s_and_saveexec_b64 s[8:9], s[6:7]
	s_cbranch_execnz .LBB0_94
.LBB0_77:                               ;   in Loop: Header=BB0_3 Depth=1
	.loc	1 0 41                          ; kl_div_aot.py:0:41
	s_or_b64 exec, exec, s[8:9]
	.loc	1 47 41                         ; kl_div_aot.py:47:41
	s_and_saveexec_b64 s[6:7], s[4:5]
	s_cbranch_execnz .LBB0_95
.LBB0_78:                               ;   in Loop: Header=BB0_3 Depth=1
	.loc	1 0 41                          ; kl_div_aot.py:0:41
	s_or_b64 exec, exec, s[6:7]
	.loc	1 47 41                         ; kl_div_aot.py:47:41
	s_and_saveexec_b64 s[4:5], s[2:3]
	s_cbranch_execnz .LBB0_96
.LBB0_79:                               ;   in Loop: Header=BB0_3 Depth=1
	.loc	1 0 41                          ; kl_div_aot.py:0:41
	s_or_b64 exec, exec, s[4:5]
	.loc	1 47 41                         ; kl_div_aot.py:47:41
	s_and_saveexec_b64 s[2:3], s[0:1]
	s_cbranch_execnz .LBB0_97
.LBB0_80:                               ;   in Loop: Header=BB0_3 Depth=1
	.loc	1 0 41                          ; kl_div_aot.py:0:41
	s_or_b64 exec, exec, s[2:3]
	.loc	1 47 41                         ; kl_div_aot.py:47:41
	s_and_saveexec_b64 s[0:1], vcc
	s_cbranch_execz .LBB0_2
	s_branch .LBB0_98
.LBB0_81:                               ;   in Loop: Header=BB0_3 Depth=1
	.loc	1 37 34 is_stmt 1               ; kl_div_aot.py:37:34
	v_lshl_add_u64 v[62:63], v[2:3], 2, s[36:37]
	.loc	1 37 25 is_stmt 0               ; kl_div_aot.py:37:25
	global_load_dword v47, v[62:63], off
	s_or_b64 exec, exec, s[40:41]
	s_and_saveexec_b64 s[40:41], vcc
	s_cbranch_execz .LBB0_65
.LBB0_82:                               ;   in Loop: Header=BB0_3 Depth=1
	.loc	1 37 34                         ; kl_div_aot.py:37:34
	v_lshl_add_u64 v[62:63], v[0:1], 2, s[36:37]
	.loc	1 37 25                         ; kl_div_aot.py:37:25
	global_load_dword v26, v[62:63], off
	s_or_b64 exec, exec, s[40:41]
	.loc	1 47 32 is_stmt 1               ; kl_div_aot.py:47:32
	v_lshl_add_u64 v[24:25], v[24:25], 2, s[38:39]
	.loc	1 47 41 is_stmt 0               ; kl_div_aot.py:47:41
	s_and_saveexec_b64 s[40:41], s[26:27]
	s_cbranch_execz .LBB0_66
.LBB0_83:                               ;   in Loop: Header=BB0_3 Depth=1
	.loc	1 0 41                          ; kl_div_aot.py:0:41
	s_waitcnt vmcnt(0)
	v_mul_f32_e32 v61, 0x3fb8aa3b, v60
	v_cmp_gt_f32_e64 s[26:27], s33, v61
	v_sub_f32_e32 v46, v60, v46
	s_nop 0
	v_cndmask_b32_e64 v62, 0, v30, s[26:27]
	v_fmac_f32_e32 v62, 0x3fb8aa3b, v60
	v_exp_f32_e32 v62, v62
	v_cndmask_b32_e64 v61, 0, v29, s[26:27]
	v_ldexp_f32 v61, v62, v61
	v_mul_f32_e32 v46, v46, v61
	.loc	1 47 41                         ; kl_div_aot.py:47:41
	global_store_dword v[24:25], v46, off
	s_or_b64 exec, exec, s[40:41]
	s_and_saveexec_b64 s[40:41], s[28:29]
	s_cbranch_execz .LBB0_67
.LBB0_84:                               ;   in Loop: Header=BB0_3 Depth=1
	.loc	1 44 26 is_stmt 1               ; kl_div_aot.py:44:26
	s_waitcnt vmcnt(0)
	v_mul_f32_e32 v46, 0x3fb8aa3b, v58
	v_cmp_gt_f32_e64 s[26:27], s33, v46
	.loc	1 44 46 is_stmt 0               ; kl_div_aot.py:44:46
	v_sub_f32_e32 v40, v58, v40
	.loc	1 44 26                         ; kl_div_aot.py:44:26
	s_nop 0
	v_cndmask_b32_e64 v60, 0, v30, s[26:27]
	v_fmac_f32_e32 v60, 0x3fb8aa3b, v58
	v_exp_f32_e32 v60, v60
	v_cndmask_b32_e64 v46, 0, v29, s[26:27]
	v_ldexp_f32 v46, v60, v46
	.loc	1 44 37                         ; kl_div_aot.py:44:37
	v_mul_f32_e32 v40, v40, v46
	.loc	1 47 41 is_stmt 1               ; kl_div_aot.py:47:41
	global_store_dword v[24:25], v40, off offset:1024
	s_or_b64 exec, exec, s[40:41]
	s_and_saveexec_b64 s[26:27], s[24:25]
	s_cbranch_execz .LBB0_68
.LBB0_85:                               ;   in Loop: Header=BB0_3 Depth=1
	.loc	1 44 26                         ; kl_div_aot.py:44:26
	s_waitcnt vmcnt(0)
	v_mul_f32_e32 v40, 0x3fb8aa3b, v59
	v_cmp_gt_f32_e64 s[24:25], s33, v40
	.loc	1 44 46 is_stmt 0               ; kl_div_aot.py:44:46
	v_sub_f32_e32 v45, v59, v45
	.loc	1 44 26                         ; kl_div_aot.py:44:26
	s_nop 0
	v_cndmask_b32_e64 v46, 0, v30, s[24:25]
	v_fmac_f32_e32 v46, 0x3fb8aa3b, v59
	v_exp_f32_e32 v46, v46
	v_cndmask_b32_e64 v40, 0, v29, s[24:25]
	v_ldexp_f32 v40, v46, v40
	.loc	1 44 37                         ; kl_div_aot.py:44:37
	v_mul_f32_e32 v40, v45, v40
	.loc	1 47 41 is_stmt 1               ; kl_div_aot.py:47:41
	global_store_dword v[24:25], v40, off offset:2048
	s_or_b64 exec, exec, s[26:27]
	s_and_saveexec_b64 s[24:25], s[22:23]
	s_cbranch_execz .LBB0_69
.LBB0_86:                               ;   in Loop: Header=BB0_3 Depth=1
	.loc	1 44 26                         ; kl_div_aot.py:44:26
	s_waitcnt vmcnt(0)
	v_mul_f32_e32 v40, 0x3fb8aa3b, v56
	v_cmp_gt_f32_e64 s[22:23], s33, v40
	.loc	1 44 46 is_stmt 0               ; kl_div_aot.py:44:46
	v_sub_f32_e32 v37, v56, v37
	.loc	1 44 26                         ; kl_div_aot.py:44:26
	s_nop 0
	v_cndmask_b32_e64 v45, 0, v30, s[22:23]
	v_fmac_f32_e32 v45, 0x3fb8aa3b, v56
	v_exp_f32_e32 v45, v45
	v_cndmask_b32_e64 v40, 0, v29, s[22:23]
	v_ldexp_f32 v40, v45, v40
	.loc	1 44 37                         ; kl_div_aot.py:44:37
	v_mul_f32_e32 v37, v37, v40
	.loc	1 47 41 is_stmt 1               ; kl_div_aot.py:47:41
	global_store_dword v[24:25], v37, off offset:3072
	s_or_b64 exec, exec, s[24:25]
	s_and_saveexec_b64 s[22:23], s[20:21]
	s_cbranch_execz .LBB0_70
.LBB0_87:                               ;   in Loop: Header=BB0_3 Depth=1
	.loc	1 44 26                         ; kl_div_aot.py:44:26
	s_waitcnt vmcnt(0)
	v_mul_f32_e32 v24, 0x3fb8aa3b, v57
	v_cmp_gt_f32_e64 s[20:21], s33, v24
	.loc	1 44 46 is_stmt 0               ; kl_div_aot.py:44:46
	v_sub_f32_e32 v37, v57, v44
	.loc	1 47 32 is_stmt 1               ; kl_div_aot.py:47:32
	v_lshl_add_u64 v[22:23], v[22:23], 2, s[38:39]
	.loc	1 44 26                         ; kl_div_aot.py:44:26
	v_cndmask_b32_e64 v25, 0, v30, s[20:21]
	v_fmac_f32_e32 v25, 0x3fb8aa3b, v57
	v_exp_f32_e32 v25, v25
	v_cndmask_b32_e64 v24, 0, v29, s[20:21]
	v_ldexp_f32 v24, v25, v24
	.loc	1 44 37 is_stmt 0               ; kl_div_aot.py:44:37
	v_mul_f32_e32 v24, v37, v24
	.loc	1 47 41 is_stmt 1               ; kl_div_aot.py:47:41
	global_store_dword v[22:23], v24, off
	s_or_b64 exec, exec, s[22:23]
	s_and_saveexec_b64 s[20:21], s[18:19]
	s_cbranch_execz .LBB0_71
.LBB0_88:                               ;   in Loop: Header=BB0_3 Depth=1
	.loc	1 44 26                         ; kl_div_aot.py:44:26
	s_waitcnt vmcnt(0)
	v_mul_f32_e32 v22, 0x3fb8aa3b, v54
	v_cmp_gt_f32_e64 s[18:19], s33, v22
	.loc	1 44 46 is_stmt 0               ; kl_div_aot.py:44:46
	v_sub_f32_e32 v24, v54, v36
	.loc	1 47 32 is_stmt 1               ; kl_div_aot.py:47:32
	v_lshl_add_u64 v[20:21], v[20:21], 2, s[38:39]
	.loc	1 44 26                         ; kl_div_aot.py:44:26
	v_cndmask_b32_e64 v23, 0, v30, s[18:19]
	v_fmac_f32_e32 v23, 0x3fb8aa3b, v54
	v_exp_f32_e32 v23, v23
	v_cndmask_b32_e64 v22, 0, v29, s[18:19]
	v_ldexp_f32 v22, v23, v22
	.loc	1 44 37 is_stmt 0               ; kl_div_aot.py:44:37
	v_mul_f32_e32 v22, v24, v22
	.loc	1 47 41 is_stmt 1               ; kl_div_aot.py:47:41
	global_store_dword v[20:21], v22, off
	s_or_b64 exec, exec, s[20:21]
	s_and_saveexec_b64 s[18:19], s[16:17]
	s_cbranch_execz .LBB0_72
.LBB0_89:                               ;   in Loop: Header=BB0_3 Depth=1
	.loc	1 44 26                         ; kl_div_aot.py:44:26
	s_waitcnt vmcnt(0)
	v_mul_f32_e32 v20, 0x3fb8aa3b, v55
	v_cmp_gt_f32_e64 s[16:17], s33, v20
	.loc	1 44 46 is_stmt 0               ; kl_div_aot.py:44:46
	v_sub_f32_e32 v22, v55, v43
	.loc	1 47 32 is_stmt 1               ; kl_div_aot.py:47:32
	v_lshl_add_u64 v[18:19], v[18:19], 2, s[38:39]
	.loc	1 44 26                         ; kl_div_aot.py:44:26
	v_cndmask_b32_e64 v21, 0, v30, s[16:17]
	v_fmac_f32_e32 v21, 0x3fb8aa3b, v55
	v_exp_f32_e32 v21, v21
	v_cndmask_b32_e64 v20, 0, v29, s[16:17]
	v_ldexp_f32 v20, v21, v20
	.loc	1 44 37 is_stmt 0               ; kl_div_aot.py:44:37
	v_mul_f32_e32 v20, v22, v20
	.loc	1 47 41 is_stmt 1               ; kl_div_aot.py:47:41
	global_store_dword v[18:19], v20, off
	s_or_b64 exec, exec, s[18:19]
	s_and_saveexec_b64 s[16:17], s[14:15]
	s_cbranch_execz .LBB0_73
.LBB0_90:                               ;   in Loop: Header=BB0_3 Depth=1
	.loc	1 44 26                         ; kl_div_aot.py:44:26
	s_waitcnt vmcnt(0)
	v_mul_f32_e32 v18, 0x3fb8aa3b, v52
	v_cmp_gt_f32_e64 s[14:15], s33, v18
	.loc	1 44 46 is_stmt 0               ; kl_div_aot.py:44:46
	v_sub_f32_e32 v20, v52, v35
	.loc	1 47 32 is_stmt 1               ; kl_div_aot.py:47:32
	v_lshl_add_u64 v[16:17], v[16:17], 2, s[38:39]
	.loc	1 44 26                         ; kl_div_aot.py:44:26
	v_cndmask_b32_e64 v19, 0, v30, s[14:15]
	v_fmac_f32_e32 v19, 0x3fb8aa3b, v52
	v_exp_f32_e32 v19, v19
	v_cndmask_b32_e64 v18, 0, v29, s[14:15]
	v_ldexp_f32 v18, v19, v18
	.loc	1 44 37 is_stmt 0               ; kl_div_aot.py:44:37
	v_mul_f32_e32 v18, v20, v18
	.loc	1 47 41 is_stmt 1               ; kl_div_aot.py:47:41
	global_store_dword v[16:17], v18, off
	s_or_b64 exec, exec, s[16:17]
	s_and_saveexec_b64 s[16:17], s[30:31]
	s_cbranch_execz .LBB0_74
.LBB0_91:                               ;   in Loop: Header=BB0_3 Depth=1
	.loc	1 44 26                         ; kl_div_aot.py:44:26
	s_waitcnt vmcnt(0)
	v_mul_f32_e32 v16, 0x3fb8aa3b, v53
	v_cmp_gt_f32_e64 s[14:15], s33, v16
	.loc	1 44 46 is_stmt 0               ; kl_div_aot.py:44:46
	v_sub_f32_e32 v18, v53, v42
	.loc	1 47 32 is_stmt 1               ; kl_div_aot.py:47:32
	v_lshl_add_u64 v[14:15], v[14:15], 2, s[38:39]
	.loc	1 44 26                         ; kl_div_aot.py:44:26
	v_cndmask_b32_e64 v17, 0, v30, s[14:15]
	v_fmac_f32_e32 v17, 0x3fb8aa3b, v53
	v_exp_f32_e32 v17, v17
	v_cndmask_b32_e64 v16, 0, v29, s[14:15]
	v_ldexp_f32 v16, v17, v16
	.loc	1 44 37 is_stmt 0               ; kl_div_aot.py:44:37
	v_mul_f32_e32 v16, v18, v16
	.loc	1 47 41 is_stmt 1               ; kl_div_aot.py:47:41
	global_store_dword v[14:15], v16, off
	s_or_b64 exec, exec, s[16:17]
	s_and_saveexec_b64 s[14:15], s[10:11]
	s_cbranch_execz .LBB0_75
.LBB0_92:                               ;   in Loop: Header=BB0_3 Depth=1
	.loc	1 44 26                         ; kl_div_aot.py:44:26
	s_waitcnt vmcnt(0)
	v_mul_f32_e32 v14, 0x3fb8aa3b, v50
	v_cmp_gt_f32_e64 s[10:11], s33, v14
	.loc	1 44 46 is_stmt 0               ; kl_div_aot.py:44:46
	v_sub_f32_e32 v16, v50, v34
	.loc	1 47 32 is_stmt 1               ; kl_div_aot.py:47:32
	v_lshl_add_u64 v[12:13], v[12:13], 2, s[38:39]
	.loc	1 44 26                         ; kl_div_aot.py:44:26
	v_cndmask_b32_e64 v15, 0, v30, s[10:11]
	v_fmac_f32_e32 v15, 0x3fb8aa3b, v50
	v_exp_f32_e32 v15, v15
	v_cndmask_b32_e64 v14, 0, v29, s[10:11]
	v_ldexp_f32 v14, v15, v14
	.loc	1 44 37 is_stmt 0               ; kl_div_aot.py:44:37
	v_mul_f32_e32 v14, v16, v14
	.loc	1 47 41 is_stmt 1               ; kl_div_aot.py:47:41
	global_store_dword v[12:13], v14, off
	s_or_b64 exec, exec, s[14:15]
	s_and_saveexec_b64 s[10:11], s[8:9]
	s_cbranch_execz .LBB0_76
.LBB0_93:                               ;   in Loop: Header=BB0_3 Depth=1
	.loc	1 44 26                         ; kl_div_aot.py:44:26
	s_waitcnt vmcnt(0)
	v_mul_f32_e32 v12, 0x3fb8aa3b, v51
	v_cmp_gt_f32_e64 s[8:9], s33, v12
	.loc	1 44 46 is_stmt 0               ; kl_div_aot.py:44:46
	v_sub_f32_e32 v14, v51, v41
	.loc	1 47 32 is_stmt 1               ; kl_div_aot.py:47:32
	v_lshl_add_u64 v[10:11], v[10:11], 2, s[38:39]
	.loc	1 44 26                         ; kl_div_aot.py:44:26
	v_cndmask_b32_e64 v13, 0, v30, s[8:9]
	v_fmac_f32_e32 v13, 0x3fb8aa3b, v51
	v_exp_f32_e32 v13, v13
	v_cndmask_b32_e64 v12, 0, v29, s[8:9]
	v_ldexp_f32 v12, v13, v12
	.loc	1 44 37 is_stmt 0               ; kl_div_aot.py:44:37
	v_mul_f32_e32 v12, v14, v12
	.loc	1 47 41 is_stmt 1               ; kl_div_aot.py:47:41
	global_store_dword v[10:11], v12, off
	s_or_b64 exec, exec, s[10:11]
	s_and_saveexec_b64 s[8:9], s[6:7]
	s_cbranch_execz .LBB0_77
.LBB0_94:                               ;   in Loop: Header=BB0_3 Depth=1
	.loc	1 44 26                         ; kl_div_aot.py:44:26
	s_waitcnt vmcnt(0)
	v_mul_f32_e32 v10, 0x3fb8aa3b, v48
	v_cmp_gt_f32_e64 s[6:7], s33, v10
	.loc	1 44 46 is_stmt 0               ; kl_div_aot.py:44:46
	v_sub_f32_e32 v12, v48, v33
	.loc	1 47 32 is_stmt 1               ; kl_div_aot.py:47:32
	v_lshl_add_u64 v[8:9], v[8:9], 2, s[38:39]
	.loc	1 44 26                         ; kl_div_aot.py:44:26
	v_cndmask_b32_e64 v11, 0, v30, s[6:7]
	v_fmac_f32_e32 v11, 0x3fb8aa3b, v48
	v_exp_f32_e32 v11, v11
	v_cndmask_b32_e64 v10, 0, v29, s[6:7]
	v_ldexp_f32 v10, v11, v10
	.loc	1 44 37 is_stmt 0               ; kl_div_aot.py:44:37
	v_mul_f32_e32 v10, v12, v10
	.loc	1 47 41 is_stmt 1               ; kl_div_aot.py:47:41
	global_store_dword v[8:9], v10, off
	s_or_b64 exec, exec, s[8:9]
	s_and_saveexec_b64 s[6:7], s[4:5]
	s_cbranch_execz .LBB0_78
.LBB0_95:                               ;   in Loop: Header=BB0_3 Depth=1
	.loc	1 44 26                         ; kl_div_aot.py:44:26
	s_waitcnt vmcnt(0)
	v_mul_f32_e32 v8, 0x3fb8aa3b, v49
	v_cmp_gt_f32_e64 s[4:5], s33, v8
	.loc	1 44 46 is_stmt 0               ; kl_div_aot.py:44:46
	v_sub_f32_e32 v10, v49, v39
	.loc	1 47 32 is_stmt 1               ; kl_div_aot.py:47:32
	v_lshl_add_u64 v[6:7], v[6:7], 2, s[38:39]
	.loc	1 44 26                         ; kl_div_aot.py:44:26
	v_cndmask_b32_e64 v9, 0, v30, s[4:5]
	v_fmac_f32_e32 v9, 0x3fb8aa3b, v49
	v_exp_f32_e32 v9, v9
	v_cndmask_b32_e64 v8, 0, v29, s[4:5]
	v_ldexp_f32 v8, v9, v8
	.loc	1 44 37 is_stmt 0               ; kl_div_aot.py:44:37
	v_mul_f32_e32 v8, v10, v8
	.loc	1 47 41 is_stmt 1               ; kl_div_aot.py:47:41
	global_store_dword v[6:7], v8, off
	s_or_b64 exec, exec, s[6:7]
	s_and_saveexec_b64 s[4:5], s[2:3]
	s_cbranch_execz .LBB0_79
.LBB0_96:                               ;   in Loop: Header=BB0_3 Depth=1
	.loc	1 44 26                         ; kl_div_aot.py:44:26
	s_waitcnt vmcnt(0)
	v_mul_f32_e32 v6, 0x3fb8aa3b, v27
	v_cmp_gt_f32_e64 s[2:3], s33, v6
	.loc	1 44 46 is_stmt 0               ; kl_div_aot.py:44:46
	v_sub_f32_e32 v8, v27, v32
	.loc	1 47 32 is_stmt 1               ; kl_div_aot.py:47:32
	v_lshl_add_u64 v[4:5], v[4:5], 2, s[38:39]
	.loc	1 44 26                         ; kl_div_aot.py:44:26
	v_cndmask_b32_e64 v7, 0, v30, s[2:3]
	v_fmac_f32_e32 v7, 0x3fb8aa3b, v27
	v_exp_f32_e32 v7, v7
	v_cndmask_b32_e64 v6, 0, v29, s[2:3]
	v_ldexp_f32 v6, v7, v6
	.loc	1 44 37 is_stmt 0               ; kl_div_aot.py:44:37
	v_mul_f32_e32 v6, v8, v6
	.loc	1 47 41 is_stmt 1               ; kl_div_aot.py:47:41
	global_store_dword v[4:5], v6, off
	s_or_b64 exec, exec, s[4:5]
	s_and_saveexec_b64 s[2:3], s[0:1]
	s_cbranch_execz .LBB0_80
.LBB0_97:                               ;   in Loop: Header=BB0_3 Depth=1
	.loc	1 44 26                         ; kl_div_aot.py:44:26
	s_waitcnt vmcnt(0)
	v_mul_f32_e32 v4, 0x3fb8aa3b, v47
	v_cmp_gt_f32_e64 s[0:1], s33, v4
	.loc	1 44 46 is_stmt 0               ; kl_div_aot.py:44:46
	v_sub_f32_e32 v6, v47, v38
	.loc	1 47 32 is_stmt 1               ; kl_div_aot.py:47:32
	v_lshl_add_u64 v[2:3], v[2:3], 2, s[38:39]
	.loc	1 44 26                         ; kl_div_aot.py:44:26
	v_cndmask_b32_e64 v5, 0, v30, s[0:1]
	v_fmac_f32_e32 v5, 0x3fb8aa3b, v47
	v_exp_f32_e32 v5, v5
	v_cndmask_b32_e64 v4, 0, v29, s[0:1]
	v_ldexp_f32 v4, v5, v4
	.loc	1 44 37 is_stmt 0               ; kl_div_aot.py:44:37
	v_mul_f32_e32 v4, v6, v4
	.loc	1 47 41 is_stmt 1               ; kl_div_aot.py:47:41
	global_store_dword v[2:3], v4, off
	s_or_b64 exec, exec, s[2:3]
	s_and_saveexec_b64 s[0:1], vcc
	s_cbranch_execz .LBB0_2
.LBB0_98:                               ;   in Loop: Header=BB0_3 Depth=1
	.loc	1 44 26                         ; kl_div_aot.py:44:26
	s_waitcnt vmcnt(0)
	v_mul_f32_e32 v2, 0x3fb8aa3b, v26
	v_cmp_gt_f32_e32 vcc, s33, v2
	.loc	1 44 46 is_stmt 0               ; kl_div_aot.py:44:46
	v_sub_f32_e32 v4, v26, v31
	.loc	1 47 32 is_stmt 1               ; kl_div_aot.py:47:32
	v_lshl_add_u64 v[0:1], v[0:1], 2, s[38:39]
	.loc	1 44 26                         ; kl_div_aot.py:44:26
	v_cndmask_b32_e32 v3, 0, v30, vcc
	v_fmac_f32_e32 v3, 0x3fb8aa3b, v26
	v_exp_f32_e32 v3, v3
	v_cndmask_b32_e32 v2, 0, v29, vcc
	v_ldexp_f32 v2, v3, v2
	.loc	1 44 37 is_stmt 0               ; kl_div_aot.py:44:37
	v_mul_f32_e32 v2, v4, v2
	.loc	1 47 41 is_stmt 1               ; kl_div_aot.py:47:41
	global_store_dword v[0:1], v2, off
	s_branch .LBB0_2
.LBB0_99:                               ; %._crit_edge
	.loc	1 51 4                          ; kl_div_aot.py:51:4
	s_endpgm
.Ltmp2:
	.section	.rodata,"a",@progbits
	.p2align	6, 0x0
	.amdhsa_kernel _kldiv_kernel_forward
		.amdhsa_group_segment_fixed_size 0
		.amdhsa_private_segment_fixed_size 0
		.amdhsa_kernarg_size 72
		.amdhsa_user_sgpr_count 15
		.amdhsa_user_sgpr_dispatch_ptr 0
		.amdhsa_user_sgpr_queue_ptr 0
		.amdhsa_user_sgpr_kernarg_segment_ptr 1
		.amdhsa_user_sgpr_dispatch_id 0
		.amdhsa_user_sgpr_kernarg_preload_length 13
		.amdhsa_user_sgpr_kernarg_preload_offset 0
		.amdhsa_user_sgpr_private_segment_size 0
		.amdhsa_uses_dynamic_stack 0
		.amdhsa_enable_private_segment 0
		.amdhsa_system_sgpr_workgroup_id_x 1
		.amdhsa_system_sgpr_workgroup_id_y 0
		.amdhsa_system_sgpr_workgroup_id_z 0
		.amdhsa_system_sgpr_workgroup_info 0
		.amdhsa_system_vgpr_workitem_id 0
		.amdhsa_next_free_vgpr 64
		.amdhsa_next_free_sgpr 42
		.amdhsa_accum_offset 64
		.amdhsa_reserve_vcc 1
		.amdhsa_reserve_xnack_mask 1
		.amdhsa_float_round_mode_32 0
		.amdhsa_float_round_mode_16_64 0
		.amdhsa_float_denorm_mode_32 3
		.amdhsa_float_denorm_mode_16_64 3
		.amdhsa_dx10_clamp 1
		.amdhsa_ieee_mode 1
		.amdhsa_fp16_overflow 0
		.amdhsa_tg_split 0
		.amdhsa_exception_fp_ieee_invalid_op 0
		.amdhsa_exception_fp_denorm_src 0
		.amdhsa_exception_fp_ieee_div_zero 0
		.amdhsa_exception_fp_ieee_overflow 0
		.amdhsa_exception_fp_ieee_underflow 0
		.amdhsa_exception_fp_ieee_inexact 0
		.amdhsa_exception_int_div_zero 0
	.end_amdhsa_kernel
	.text
.Lfunc_end0:
	.size	_kldiv_kernel_forward, .Lfunc_end0-_kldiv_kernel_forward
	.cfi_endproc
                                        ; -- End function
	.set _kldiv_kernel_forward.num_vgpr, 64
	.set _kldiv_kernel_forward.num_agpr, 0
	.set _kldiv_kernel_forward.numbered_sgpr, 42
	.set _kldiv_kernel_forward.num_named_barrier, 0
	.set _kldiv_kernel_forward.private_seg_size, 0
	.set _kldiv_kernel_forward.uses_vcc, 1
	.set _kldiv_kernel_forward.uses_flat_scratch, 0
	.set _kldiv_kernel_forward.has_dyn_sized_stack, 0
	.set _kldiv_kernel_forward.has_recursion, 0
	.set _kldiv_kernel_forward.has_indirect_call, 0
	.section	.AMDGPU.csdata,"",@progbits
; Kernel info:
; codeLenInByte = 3340
; TotalNumSgprs: 48
; NumVgprs: 64
; NumAgprs: 0
; TotalNumVgprs: 64
; ScratchSize: 0
; MemoryBound: 0
; FloatMode: 240
; IeeeMode: 1
; LDSByteSize: 0 bytes/workgroup (compile time only)
; SGPRBlocks: 5
; VGPRBlocks: 7
; NumSGPRsForWavesPerEU: 48
; NumVGPRsForWavesPerEU: 64
; AccumOffset: 64
; Occupancy: 8
; WaveLimiterHint : 0
; COMPUTE_PGM_RSRC2:SCRATCH_EN: 0
; COMPUTE_PGM_RSRC2:USER_SGPR: 15
; COMPUTE_PGM_RSRC2:TRAP_HANDLER: 0
; COMPUTE_PGM_RSRC2:TGID_X_EN: 1
; COMPUTE_PGM_RSRC2:TGID_Y_EN: 0
; COMPUTE_PGM_RSRC2:TGID_Z_EN: 0
; COMPUTE_PGM_RSRC2:TIDIG_COMP_CNT: 0
; COMPUTE_PGM_RSRC3_GFX90A:ACCUM_OFFSET: 15
; COMPUTE_PGM_RSRC3_GFX90A:TG_SPLIT: 0
	.text
	.p2alignl 6, 3212836864
	.fill 256, 4, 3212836864
	.section	.AMDGPU.gpr_maximums,"",@progbits
	.set amdgpu.max_num_vgpr, 0
	.set amdgpu.max_num_agpr, 0
	.set amdgpu.max_num_sgpr, 0
	.set amdgpu.max_num_named_barrier, 0
	.text
	.section	.debug_abbrev,"",@progbits
	.byte	1                               ; Abbreviation Code
	.byte	17                              ; DW_TAG_compile_unit
	.byte	0                               ; DW_CHILDREN_no
	.byte	37                              ; DW_AT_producer
	.byte	14                              ; DW_FORM_strp
	.byte	19                              ; DW_AT_language
	.byte	5                               ; DW_FORM_data2
	.byte	3                               ; DW_AT_name
	.byte	14                              ; DW_FORM_strp
	.byte	16                              ; DW_AT_stmt_list
	.byte	23                              ; DW_FORM_sec_offset
	.byte	27                              ; DW_AT_comp_dir
	.byte	14                              ; DW_FORM_strp
	.byte	17                              ; DW_AT_low_pc
	.byte	1                               ; DW_FORM_addr
	.byte	18                              ; DW_AT_high_pc
	.byte	6                               ; DW_FORM_data4
	.byte	0                               ; EOM(1)
	.byte	0                               ; EOM(2)
	;; [unrolled: 1-line block ×3, first 2 shown]
	.section	.debug_info,"",@progbits
.Lcu_begin0:
	.long	.Ldebug_info_end0-.Ldebug_info_start0 ; Length of Unit
.Ldebug_info_start0:
	.short	4                               ; DWARF version number
	.long	.debug_abbrev                   ; Offset Into Abbrev. Section
	.byte	8                               ; Address Size (in bytes)
	.byte	1                               ; Abbrev [1] 0xb:0x1f DW_TAG_compile_unit
	.long	.Linfo_string0                  ; DW_AT_producer
	.short	2                               ; DW_AT_language
	.long	.Linfo_string1                  ; DW_AT_name
	.long	.Lline_table_start0             ; DW_AT_stmt_list
	.long	.Linfo_string2                  ; DW_AT_comp_dir
	.quad	.Lfunc_begin0                   ; DW_AT_low_pc
	.long	.Lfunc_end0-.Lfunc_begin0       ; DW_AT_high_pc
.Ldebug_info_end0:
	.section	.debug_str,"MS",@progbits,1
.Linfo_string0:
	.asciz	"triton"                        ; string offset=0
.Linfo_string1:
	.asciz	"kl_div_aot.py"                 ; string offset=7
.Linfo_string2:
	.asciz	"/root/src/amdgpu-assembly/repos/linkedin__Liger-Kernel/triton_aot_kernels" ; string offset=21
	.section	".note.GNU-stack","",@progbits
	.amdgpu_metadata
---
amdhsa.kernels:
  - .agpr_count:     0
    .args:
      - .address_space:  global
        .offset:         0
        .size:           8
        .value_kind:     global_buffer
      - .offset:         8
        .size:           4
        .value_kind:     by_value
      - .address_space:  global
        .offset:         16
        .size:           8
        .value_kind:     global_buffer
      - .offset:         24
        .size:           4
        .value_kind:     by_value
      - .address_space:  global
        .offset:         32
        .size:           8
        .value_kind:     global_buffer
      - .offset:         40
        .size:           4
        .value_kind:     by_value
      - .offset:         44
        .size:           4
        .value_kind:     by_value
      - .offset:         48
        .size:           4
        .value_kind:     by_value
      - .address_space:  global
        .offset:         56
        .size:           8
        .value_kind:     global_buffer
      - .address_space:  global
        .offset:         64
        .size:           8
        .value_kind:     global_buffer
    .group_segment_fixed_size: 0
    .kernarg_segment_align: 8
    .kernarg_segment_size: 72
    .max_flat_workgroup_size: 256
    .name:           _kldiv_kernel_forward
    .private_segment_fixed_size: 0
    .sgpr_count:     48
    .sgpr_spill_count: 0
    .symbol:         _kldiv_kernel_forward.kd
    .uniform_work_group_size: 1
    .uses_dynamic_stack: false
    .vgpr_count:     64
    .vgpr_spill_count: 0
    .wavefront_size: 64
amdhsa.target:   amdgcn-amd-amdhsa--gfx950
amdhsa.version:
  - 1
  - 2
...

	.end_amdgpu_metadata
	.section	.debug_line,"",@progbits
.Lline_table_start0:
